;; amdgpu-corpus repo=ROCm/rocFFT kind=compiled arch=gfx1030 opt=O3
	.text
	.amdgcn_target "amdgcn-amd-amdhsa--gfx1030"
	.amdhsa_code_object_version 6
	.protected	fft_rtc_fwd_len60_factors_6_10_wgs_160_tpt_10_sp_op_CI_CI_sbcc_twdbase6_3step ; -- Begin function fft_rtc_fwd_len60_factors_6_10_wgs_160_tpt_10_sp_op_CI_CI_sbcc_twdbase6_3step
	.globl	fft_rtc_fwd_len60_factors_6_10_wgs_160_tpt_10_sp_op_CI_CI_sbcc_twdbase6_3step
	.p2align	8
	.type	fft_rtc_fwd_len60_factors_6_10_wgs_160_tpt_10_sp_op_CI_CI_sbcc_twdbase6_3step,@function
fft_rtc_fwd_len60_factors_6_10_wgs_160_tpt_10_sp_op_CI_CI_sbcc_twdbase6_3step: ; @fft_rtc_fwd_len60_factors_6_10_wgs_160_tpt_10_sp_op_CI_CI_sbcc_twdbase6_3step
; %bb.0:
	s_clause 0x3
	s_load_dwordx2 s[24:25], s[4:5], 0x0
	s_load_dwordx8 s[8:15], s[4:5], 0x8
	s_load_dwordx4 s[16:19], s[4:5], 0x60
	s_load_dwordx2 s[26:27], s[4:5], 0x28
	s_mov_b32 s1, exec_lo
	v_cmpx_gt_u32_e32 0xc0, v0
	s_cbranch_execz .LBB0_3
; %bb.1:
	v_lshlrev_b32_e32 v5, 3, v0
	v_add_co_u32 v1, s0, 0xffffff60, v0
	v_add_co_ci_u32_e64 v2, null, 0, -1, s0
	s_waitcnt lgkmcnt(0)
	v_add_co_u32 v3, s0, s8, v5
	v_add_co_ci_u32_e64 v4, null, s9, 0, s0
	v_add3_u32 v5, v5, 0, 0x1e00
	s_mov_b32 s2, 0
	.p2align	6
.LBB0_2:                                ; =>This Inner Loop Header: Depth=1
	global_load_dwordx2 v[6:7], v[3:4], off
	v_add_co_u32 v1, vcc_lo, 0xa0, v1
	v_add_co_ci_u32_e32 v2, vcc_lo, 0, v2, vcc_lo
	v_add_co_u32 v3, vcc_lo, 0x500, v3
	v_add_co_ci_u32_e32 v4, vcc_lo, 0, v4, vcc_lo
	v_cmp_lt_u64_e64 s0, 31, v[1:2]
	s_or_b32 s2, s0, s2
	s_waitcnt vmcnt(0)
	ds_write_b64 v5, v[6:7]
	v_add_nc_u32_e32 v5, 0x500, v5
	s_andn2_b32 exec_lo, exec_lo, s2
	s_cbranch_execnz .LBB0_2
.LBB0_3:
	s_or_b32 exec_lo, exec_lo, s1
	s_waitcnt lgkmcnt(0)
	s_load_dwordx2 s[28:29], s[12:13], 0x8
	s_mov_b32 s7, 0
	s_mov_b64 s[4:5], 0
	s_waitcnt lgkmcnt(0)
	s_add_u32 s0, s28, -1
	s_addc_u32 s1, s29, -1
	s_lshr_b64 s[0:1], s[0:1], 4
	s_add_u32 s30, s0, 1
	s_addc_u32 s31, s1, 0
	v_cmp_lt_u64_e64 s0, s[6:7], s[30:31]
	s_and_b32 vcc_lo, exec_lo, s0
	s_cbranch_vccnz .LBB0_5
; %bb.4:
	v_cvt_f32_u32_e32 v1, s30
	s_sub_i32 s1, 0, s30
	s_mov_b32 s5, s7
	v_rcp_iflag_f32_e32 v1, v1
	v_mul_f32_e32 v1, 0x4f7ffffe, v1
	v_cvt_u32_f32_e32 v1, v1
	v_readfirstlane_b32 s0, v1
	s_mul_i32 s1, s1, s0
	s_mul_hi_u32 s1, s0, s1
	s_add_i32 s0, s0, s1
	s_mul_hi_u32 s0, s6, s0
	s_mul_i32 s1, s0, s30
	s_add_i32 s2, s0, 1
	s_sub_i32 s1, s6, s1
	s_sub_i32 s3, s1, s30
	s_cmp_ge_u32 s1, s30
	s_cselect_b32 s0, s2, s0
	s_cselect_b32 s1, s3, s1
	s_add_i32 s2, s0, 1
	s_cmp_ge_u32 s1, s30
	s_cselect_b32 s4, s2, s0
.LBB0_5:
	s_load_dwordx4 s[20:23], s[14:15], 0x0
	s_load_dwordx4 s[0:3], s[26:27], 0x0
	s_mul_i32 s8, s4, s31
	s_mul_hi_u32 s9, s4, s30
	s_mul_i32 s33, s4, s30
	s_add_i32 s9, s9, s8
	s_sub_u32 s8, s6, s33
	s_subb_u32 s9, 0, s9
	v_cmp_lt_u64_e64 s33, s[10:11], 3
	v_alignbit_b32 v1, s9, s8, 28
	s_lshl_b64 s[8:9], s[8:9], 4
	s_and_b32 vcc_lo, exec_lo, s33
	s_waitcnt lgkmcnt(0)
	v_mul_lo_u32 v2, s22, v1
	v_mul_lo_u32 v1, s2, v1
	s_mul_hi_u32 s34, s22, s8
	s_mul_hi_u32 s37, s2, s8
	s_mul_i32 s35, s23, s8
	s_mul_i32 s36, s22, s8
	s_mul_i32 s38, s3, s8
	v_add_nc_u32_e32 v2, s34, v2
	v_add_nc_u32_e32 v3, s37, v1
	s_mul_i32 s34, s2, s8
	v_mov_b32_e32 v1, s36
	v_mov_b32_e32 v8, s34
	v_add_nc_u32_e32 v2, s35, v2
	v_add_nc_u32_e32 v9, s38, v3
	s_cbranch_vccnz .LBB0_14
; %bb.6:
	s_add_u32 s34, s26, 16
	s_addc_u32 s35, s27, 0
	s_add_u32 s36, s14, 16
	s_addc_u32 s37, s15, 0
	;; [unrolled: 2-line block ×3, first 2 shown]
	s_mov_b64 s[38:39], 2
	s_mov_b32 s40, 0
	s_branch .LBB0_8
.LBB0_7:                                ;   in Loop: Header=BB0_8 Depth=1
	s_load_dwordx2 s[46:47], s[36:37], 0x0
	s_load_dwordx2 s[48:49], s[34:35], 0x0
	s_mul_i32 s31, s42, s31
	s_mul_hi_u32 s33, s42, s30
	s_mul_i32 s41, s43, s30
	s_mul_i32 s43, s44, s43
	s_mul_hi_u32 s50, s44, s42
	s_mul_i32 s51, s45, s42
	s_add_i32 s31, s33, s31
	s_add_i32 s33, s50, s43
	s_mul_i32 s52, s44, s42
	s_add_i32 s31, s31, s41
	s_add_i32 s33, s33, s51
	s_sub_u32 s4, s4, s52
	s_subb_u32 s5, s5, s33
	s_mul_i32 s30, s42, s30
	s_waitcnt lgkmcnt(0)
	s_mul_i32 s33, s46, s5
	s_mul_hi_u32 s41, s46, s4
	s_mul_i32 s43, s46, s4
	s_mul_i32 s5, s48, s5
	s_mul_hi_u32 s46, s48, s4
	s_mul_i32 s42, s47, s4
	s_add_i32 s33, s41, s33
	s_add_i32 s5, s46, s5
	s_mul_i32 s41, s49, s4
	s_add_i32 s33, s33, s42
	s_add_i32 s5, s5, s41
	v_add_co_u32 v1, vcc_lo, s43, v1
	s_add_u32 s38, s38, 1
	s_mul_i32 s4, s48, s4
	s_addc_u32 s39, s39, 0
	v_add_co_ci_u32_e32 v2, vcc_lo, s33, v2, vcc_lo
	v_add_co_u32 v8, vcc_lo, s4, v8
	v_cmp_ge_u64_e64 s4, s[38:39], s[10:11]
	s_add_u32 s34, s34, 8
	s_addc_u32 s35, s35, 0
	v_add_co_ci_u32_e32 v9, vcc_lo, s5, v9, vcc_lo
	s_add_u32 s36, s36, 8
	s_addc_u32 s37, s37, 0
	s_add_u32 s12, s12, 8
	s_addc_u32 s13, s13, 0
	s_and_b32 vcc_lo, exec_lo, s4
	s_mov_b64 s[4:5], s[44:45]
	s_cbranch_vccnz .LBB0_12
.LBB0_8:                                ; =>This Inner Loop Header: Depth=1
	s_load_dwordx2 s[42:43], s[12:13], 0x0
	s_mov_b32 s33, -1
	s_waitcnt lgkmcnt(0)
	s_or_b64 s[44:45], s[4:5], s[42:43]
	s_mov_b32 s41, s45
                                        ; implicit-def: $sgpr44_sgpr45
	s_cmp_lg_u64 s[40:41], 0
	s_cbranch_scc0 .LBB0_10
; %bb.9:                                ;   in Loop: Header=BB0_8 Depth=1
	v_cvt_f32_u32_e32 v3, s42
	v_cvt_f32_u32_e32 v4, s43
	s_sub_u32 s44, 0, s42
	s_subb_u32 s45, 0, s43
	v_fmac_f32_e32 v3, 0x4f800000, v4
	v_rcp_f32_e32 v3, v3
	v_mul_f32_e32 v3, 0x5f7ffffc, v3
	v_mul_f32_e32 v4, 0x2f800000, v3
	v_trunc_f32_e32 v4, v4
	v_fmac_f32_e32 v3, 0xcf800000, v4
	v_cvt_u32_f32_e32 v4, v4
	v_cvt_u32_f32_e32 v3, v3
	v_readfirstlane_b32 s33, v4
	v_readfirstlane_b32 s41, v3
	s_mul_i32 s46, s44, s33
	s_mul_hi_u32 s48, s44, s41
	s_mul_i32 s47, s45, s41
	s_add_i32 s46, s48, s46
	s_mul_i32 s49, s44, s41
	s_add_i32 s46, s46, s47
	s_mul_hi_u32 s48, s41, s49
	s_mul_hi_u32 s50, s33, s49
	s_mul_i32 s47, s33, s49
	s_mul_hi_u32 s49, s41, s46
	s_mul_i32 s41, s41, s46
	s_mul_hi_u32 s51, s33, s46
	s_add_u32 s41, s48, s41
	s_addc_u32 s48, 0, s49
	s_add_u32 s41, s41, s47
	s_mul_i32 s46, s33, s46
	s_addc_u32 s41, s48, s50
	s_addc_u32 s47, s51, 0
	s_add_u32 s41, s41, s46
	s_addc_u32 s46, 0, s47
	v_add_co_u32 v3, s41, v3, s41
	s_cmp_lg_u32 s41, 0
	s_addc_u32 s33, s33, s46
	v_readfirstlane_b32 s41, v3
	s_mul_i32 s46, s44, s33
	s_mul_hi_u32 s47, s44, s41
	s_mul_i32 s45, s45, s41
	s_add_i32 s46, s47, s46
	s_mul_i32 s44, s44, s41
	s_add_i32 s46, s46, s45
	s_mul_hi_u32 s47, s33, s44
	s_mul_i32 s48, s33, s44
	s_mul_hi_u32 s44, s41, s44
	s_mul_hi_u32 s49, s41, s46
	s_mul_i32 s41, s41, s46
	s_mul_hi_u32 s45, s33, s46
	s_add_u32 s41, s44, s41
	s_addc_u32 s44, 0, s49
	s_add_u32 s41, s41, s48
	s_mul_i32 s46, s33, s46
	s_addc_u32 s41, s44, s47
	s_addc_u32 s44, s45, 0
	s_add_u32 s41, s41, s46
	s_addc_u32 s44, 0, s44
	v_add_co_u32 v3, s41, v3, s41
	s_cmp_lg_u32 s41, 0
	s_addc_u32 s33, s33, s44
	v_readfirstlane_b32 s41, v3
	s_mul_i32 s45, s4, s33
	s_mul_hi_u32 s44, s4, s33
	s_mul_hi_u32 s46, s5, s33
	s_mul_i32 s33, s5, s33
	s_mul_hi_u32 s47, s4, s41
	s_mul_hi_u32 s48, s5, s41
	s_mul_i32 s41, s5, s41
	s_add_u32 s45, s47, s45
	s_addc_u32 s44, 0, s44
	s_add_u32 s41, s45, s41
	s_addc_u32 s41, s44, s48
	s_addc_u32 s44, s46, 0
	s_add_u32 s41, s41, s33
	s_addc_u32 s44, 0, s44
	s_mul_hi_u32 s33, s42, s41
	s_mul_i32 s46, s42, s44
	s_mul_i32 s47, s42, s41
	s_add_i32 s33, s33, s46
	v_sub_co_u32 v3, s46, s4, s47
	s_mul_i32 s45, s43, s41
	s_add_i32 s33, s33, s45
	v_sub_co_u32 v4, s47, v3, s42
	s_sub_i32 s45, s5, s33
	s_cmp_lg_u32 s46, 0
	s_subb_u32 s45, s45, s43
	s_cmp_lg_u32 s47, 0
	v_readfirstlane_b32 s47, v4
	s_subb_u32 s45, s45, 0
	s_cmp_ge_u32 s45, s43
	s_cselect_b32 s48, -1, 0
	s_cmp_ge_u32 s47, s42
	s_cselect_b32 s47, -1, 0
	s_cmp_eq_u32 s45, s43
	s_cselect_b32 s45, s47, s48
	s_add_u32 s47, s41, 1
	s_addc_u32 s48, s44, 0
	s_add_u32 s49, s41, 2
	s_addc_u32 s50, s44, 0
	s_cmp_lg_u32 s45, 0
	s_cselect_b32 s47, s49, s47
	s_cselect_b32 s45, s50, s48
	s_cmp_lg_u32 s46, 0
	v_readfirstlane_b32 s46, v3
	s_subb_u32 s33, s5, s33
	s_cmp_ge_u32 s33, s43
	s_cselect_b32 s48, -1, 0
	s_cmp_ge_u32 s46, s42
	s_cselect_b32 s46, -1, 0
	s_cmp_eq_u32 s33, s43
	s_cselect_b32 s33, s46, s48
	s_cmp_lg_u32 s33, 0
	s_mov_b32 s33, 0
	s_cselect_b32 s45, s45, s44
	s_cselect_b32 s44, s47, s41
.LBB0_10:                               ;   in Loop: Header=BB0_8 Depth=1
	s_andn2_b32 vcc_lo, exec_lo, s33
	s_cbranch_vccnz .LBB0_7
; %bb.11:                               ;   in Loop: Header=BB0_8 Depth=1
	v_cvt_f32_u32_e32 v3, s42
	s_sub_i32 s41, 0, s42
	v_rcp_iflag_f32_e32 v3, v3
	v_mul_f32_e32 v3, 0x4f7ffffe, v3
	v_cvt_u32_f32_e32 v3, v3
	v_readfirstlane_b32 s33, v3
	s_mul_i32 s41, s41, s33
	s_mul_hi_u32 s41, s33, s41
	s_add_i32 s33, s33, s41
	s_mul_hi_u32 s33, s4, s33
	s_mul_i32 s41, s33, s42
	s_add_i32 s44, s33, 1
	s_sub_i32 s41, s4, s41
	s_sub_i32 s45, s41, s42
	s_cmp_ge_u32 s41, s42
	s_cselect_b32 s33, s44, s33
	s_cselect_b32 s41, s45, s41
	s_add_i32 s44, s33, 1
	s_cmp_ge_u32 s41, s42
	s_mov_b32 s45, s40
	s_cselect_b32 s44, s44, s33
	s_branch .LBB0_7
.LBB0_12:
	v_cmp_lt_u64_e64 s4, s[6:7], s[30:31]
	s_and_b32 vcc_lo, exec_lo, s4
	s_mov_b64 s[4:5], 0
	s_cbranch_vccnz .LBB0_14
; %bb.13:
	v_cvt_f32_u32_e32 v3, s30
	s_sub_i32 s5, 0, s30
	v_rcp_iflag_f32_e32 v3, v3
	v_mul_f32_e32 v3, 0x4f7ffffe, v3
	v_cvt_u32_f32_e32 v3, v3
	v_readfirstlane_b32 s4, v3
	s_mul_i32 s5, s5, s4
	s_mul_hi_u32 s5, s4, s5
	s_add_i32 s4, s4, s5
	s_mul_hi_u32 s4, s6, s4
	s_mul_i32 s5, s4, s30
	s_sub_i32 s5, s6, s5
	s_add_i32 s6, s4, 1
	s_sub_i32 s7, s5, s30
	s_cmp_ge_u32 s5, s30
	s_cselect_b32 s4, s6, s4
	s_cselect_b32 s5, s7, s5
	s_add_i32 s6, s4, 1
	s_cmp_ge_u32 s5, s30
	s_cselect_b32 s4, s6, s4
.LBB0_14:
	v_and_b32_e32 v88, 15, v0
	s_lshl_b64 s[10:11], s[10:11], 3
	v_mov_b32_e32 v4, s9
	s_add_u32 s6, s26, s10
	s_addc_u32 s7, s27, s11
	v_or_b32_e32 v3, s8, v88
	s_add_u32 s12, s8, 16
	v_lshrrev_b32_e32 v87, 4, v0
	s_addc_u32 s13, s9, 0
	v_mul_u32_u24_e32 v89, 0x1e0, v88
	v_cmp_le_u64_e64 s5, s[12:13], s[28:29]
	v_cmp_gt_u64_e32 vcc_lo, s[28:29], v[3:4]
	v_lshlrev_b32_e32 v90, 3, v87
	v_add_nc_u32_e32 v86, 10, v87
	v_add_nc_u32_e32 v85, 20, v87
	;; [unrolled: 1-line block ×5, first 2 shown]
	s_or_b32 s5, s5, vcc_lo
	s_and_saveexec_b32 s9, s5
	s_cbranch_execz .LBB0_16
; %bb.15:
	s_add_u32 s10, s14, s10
	s_addc_u32 s11, s15, s11
	v_mad_u64_u32 v[3:4], null, s22, v88, 0
	s_load_dwordx2 s[10:11], s[10:11], 0x0
	v_mad_u64_u32 v[5:6], null, s20, v87, 0
	v_mad_u64_u32 v[10:11], null, s20, v86, 0
	v_lshlrev_b64 v[1:2], 3, v[1:2]
	v_mad_u64_u32 v[15:16], null, s20, v84, 0
	v_mad_u64_u32 v[17:18], null, s20, v82, 0
	;; [unrolled: 1-line block ×5, first 2 shown]
	v_mov_b32_e32 v7, v11
	v_mov_b32_e32 v4, v12
	s_waitcnt lgkmcnt(0)
	s_mul_i32 s11, s11, s4
	s_mul_hi_u32 s12, s10, s4
	s_mul_i32 s10, s10, s4
	s_add_i32 s11, s12, s11
	v_lshlrev_b64 v[3:4], 3, v[3:4]
	s_lshl_b64 s[10:11], s[10:11], 3
	s_add_u32 s10, s16, s10
	s_addc_u32 s11, s17, s11
	v_add_co_u32 v11, vcc_lo, s10, v1
	v_add_co_ci_u32_e32 v12, vcc_lo, s11, v2, vcc_lo
	v_mad_u64_u32 v[1:2], null, s21, v86, v[7:8]
	v_add_co_u32 v20, vcc_lo, v11, v3
	v_add_co_ci_u32_e32 v21, vcc_lo, v12, v4, vcc_lo
	v_lshlrev_b64 v[3:4], 3, v[5:6]
	v_mov_b32_e32 v2, v14
	v_mov_b32_e32 v11, v1
	v_mov_b32_e32 v1, v16
	v_mad_u64_u32 v[5:6], null, s21, v85, v[2:3]
	v_mad_u64_u32 v[6:7], null, s20, v83, 0
	;; [unrolled: 1-line block ×3, first 2 shown]
	v_add_co_u32 v2, vcc_lo, v20, v3
	v_add_co_ci_u32_e32 v3, vcc_lo, v21, v4, vcc_lo
	v_mov_b32_e32 v4, v7
	v_mov_b32_e32 v14, v5
	v_lshlrev_b64 v[10:11], 3, v[10:11]
	v_mov_b32_e32 v16, v1
	v_mov_b32_e32 v1, v18
	v_mad_u64_u32 v[4:5], null, s21, v83, v[4:5]
	v_lshlrev_b64 v[12:13], 3, v[13:14]
	v_add_co_u32 v10, vcc_lo, v20, v10
	v_mad_u64_u32 v[18:19], null, s21, v82, v[1:2]
	v_lshlrev_b64 v[14:15], 3, v[15:16]
	v_mov_b32_e32 v7, v4
	v_add_co_ci_u32_e32 v11, vcc_lo, v21, v11, vcc_lo
	v_add_co_u32 v4, vcc_lo, v20, v12
	v_add_co_ci_u32_e32 v5, vcc_lo, v21, v13, vcc_lo
	v_lshlrev_b64 v[6:7], 3, v[6:7]
	v_add_co_u32 v12, vcc_lo, v20, v14
	v_add_co_ci_u32_e32 v13, vcc_lo, v21, v15, vcc_lo
	v_lshlrev_b64 v[14:15], 3, v[17:18]
	v_add_co_u32 v6, vcc_lo, v20, v6
	v_add_co_ci_u32_e32 v7, vcc_lo, v21, v7, vcc_lo
	v_add_co_u32 v14, vcc_lo, v20, v14
	v_add_co_ci_u32_e32 v15, vcc_lo, v21, v15, vcc_lo
	s_clause 0x5
	global_load_dwordx2 v[1:2], v[2:3], off
	global_load_dwordx2 v[10:11], v[10:11], off
	;; [unrolled: 1-line block ×6, first 2 shown]
	v_add3_u32 v7, 0, v89, v90
	s_waitcnt vmcnt(4)
	ds_write2_b64 v7, v[1:2], v[10:11] offset1:10
	s_waitcnt vmcnt(2)
	ds_write2_b64 v7, v[3:4], v[12:13] offset0:20 offset1:30
	s_waitcnt vmcnt(0)
	ds_write2_b64 v7, v[5:6], v[14:15] offset0:40 offset1:50
.LBB0_16:
	s_or_b32 exec_lo, exec_lo, s9
	v_mul_hi_u32 v22, 0x1999999a, v0
	s_load_dwordx2 s[6:7], s[6:7], 0x0
	s_waitcnt lgkmcnt(0)
	s_barrier
	buffer_gl0_inv
	v_and_b32_e32 v1, 15, v22
	v_mul_u32_u24_e32 v2, 10, v22
	v_mul_u32_u24_e32 v1, 60, v1
	v_sub_nc_u32_e32 v23, v0, v2
	v_lshlrev_b32_e32 v0, 3, v1
	v_lshlrev_b32_e32 v1, 3, v23
	v_cmp_gt_u32_e32 vcc_lo, 6, v23
	v_add3_u32 v91, 0, v1, v0
	v_add3_u32 v92, 0, v0, v1
	ds_read2_b64 v[0:3], v91 offset0:10 offset1:20
	ds_read_b64 v[11:12], v92
	ds_read2_b64 v[4:7], v91 offset0:30 offset1:40
	ds_read_b64 v[13:14], v91 offset:400
	v_mad_i32_i24 v24, v23, 40, v91
	s_waitcnt lgkmcnt(0)
	s_barrier
	buffer_gl0_inv
	v_add_f32_e32 v17, v12, v3
	v_sub_f32_e32 v16, v3, v7
	v_add_f32_e32 v3, v3, v7
	v_add_f32_e32 v19, v4, v13
	v_sub_f32_e32 v20, v5, v14
	v_add_f32_e32 v21, v1, v5
	v_add_f32_e32 v5, v5, v14
	;; [unrolled: 1-line block ×4, first 2 shown]
	v_sub_f32_e32 v2, v2, v6
	v_add_f32_e32 v18, v0, v4
	v_sub_f32_e32 v4, v4, v13
	v_fmac_f32_e32 v12, -0.5, v3
	v_fma_f32 v0, -0.5, v19, v0
	v_fma_f32 v1, -0.5, v5, v1
	v_add_f32_e32 v3, v18, v13
	v_add_f32_e32 v13, v21, v14
	v_fmamk_f32 v21, v2, 0xbf5db3d7, v12
	v_fmac_f32_e32 v12, 0x3f5db3d7, v2
	v_fmamk_f32 v2, v20, 0x3f5db3d7, v0
	v_fmamk_f32 v5, v4, 0xbf5db3d7, v1
	v_fmac_f32_e32 v0, 0xbf5db3d7, v20
	v_fmac_f32_e32 v1, 0x3f5db3d7, v4
	v_fma_f32 v15, -0.5, v15, v11
	v_mul_f32_e32 v26, 0xbf5db3d7, v2
	v_mul_f32_e32 v20, 0x3f5db3d7, v5
	v_mul_f32_e32 v25, -0.5, v0
	v_mul_f32_e32 v27, -0.5, v1
	v_add_f32_e32 v6, v10, v6
	v_add_f32_e32 v7, v17, v7
	v_fmamk_f32 v14, v16, 0x3f5db3d7, v15
	v_fmac_f32_e32 v15, 0xbf5db3d7, v16
	v_fmac_f32_e32 v20, 0.5, v2
	v_fmac_f32_e32 v25, 0x3f5db3d7, v1
	v_fmac_f32_e32 v26, 0.5, v5
	v_fmac_f32_e32 v27, 0xbf5db3d7, v0
	v_add_f32_e32 v10, v6, v3
	v_add_f32_e32 v11, v7, v13
	v_sub_f32_e32 v4, v6, v3
	v_sub_f32_e32 v5, v7, v13
	v_add_f32_e32 v16, v14, v20
	v_add_f32_e32 v18, v15, v25
	;; [unrolled: 1-line block ×4, first 2 shown]
	v_sub_f32_e32 v20, v14, v20
	v_sub_f32_e32 v14, v15, v25
	;; [unrolled: 1-line block ×4, first 2 shown]
	ds_write2_b64 v24, v[10:11], v[16:17] offset1:1
	ds_write2_b64 v24, v[18:19], v[4:5] offset0:2 offset1:3
	ds_write2_b64 v24, v[20:21], v[14:15] offset0:4 offset1:5
	s_waitcnt lgkmcnt(0)
	s_barrier
	buffer_gl0_inv
                                        ; implicit-def: $vgpr13
                                        ; implicit-def: $vgpr3
                                        ; implicit-def: $vgpr7
	s_and_saveexec_b32 s9, vcc_lo
	s_cbranch_execz .LBB0_18
; %bb.17:
	ds_read2_b64 v[4:7], v91 offset0:30 offset1:36
	ds_read2_b64 v[16:19], v91 offset0:18 offset1:24
	;; [unrolled: 1-line block ×4, first 2 shown]
	ds_read_b64 v[10:11], v92
	ds_read_b64 v[12:13], v91 offset:432
	s_waitcnt lgkmcnt(5)
	v_mov_b32_e32 v15, v5
	v_mov_b32_e32 v14, v4
	s_waitcnt lgkmcnt(4)
	v_mov_b32_e32 v21, v19
	v_mov_b32_e32 v20, v18
	v_mov_b32_e32 v5, v17
	v_mov_b32_e32 v4, v16
	s_waitcnt lgkmcnt(3)
	v_mov_b32_e32 v19, v27
	v_mov_b32_e32 v18, v26
	;; [unrolled: 1-line block ×4, first 2 shown]
.LBB0_18:
	s_or_b32 exec_lo, exec_lo, s9
	v_add_nc_u32_e32 v24, -6, v23
	v_add_nc_u32_e32 v44, s8, v22
	s_add_i32 s8, 0, 0x1e00
	v_cndmask_b32_e32 v93, v24, v23, vcc_lo
	v_mul_lo_u32 v45, v44, 6
	v_mul_lo_u32 v50, v44, 12
	;; [unrolled: 1-line block ×3, first 2 shown]
	v_or_b32_e32 v26, 24, v93
	v_or_b32_e32 v64, 48, v93
	v_mul_lo_u32 v26, v44, v26
	v_mul_lo_u32 v74, v44, v64
	v_and_b32_e32 v23, 63, v22
	v_lshrrev_b32_e32 v24, 3, v22
	v_lshrrev_b32_e32 v25, 9, v22
	v_add_nc_u32_e32 v22, v22, v45
	v_lshl_add_u32 v23, v23, 3, 0
	v_and_b32_e32 v24, 0x1f8, v24
	v_and_b32_e32 v25, 0x1f8, v25
	v_and_b32_e32 v27, 63, v22
	v_lshrrev_b32_e32 v28, 3, v22
	v_lshrrev_b32_e32 v29, 9, v22
	v_add_nc_u32_e32 v22, v22, v45
	v_add_nc_u32_e32 v24, s8, v24
	;; [unrolled: 1-line block ×3, first 2 shown]
	v_and_b32_e32 v28, 0x1f8, v28
	v_lshl_add_u32 v27, v27, 3, 0
	v_lshrrev_b32_e32 v37, 3, v22
	v_add_nc_u32_e32 v46, v22, v45
	v_and_b32_e32 v29, 0x1f8, v29
	v_and_b32_e32 v36, 63, v22
	v_lshrrev_b32_e32 v38, 9, v22
	ds_read_b64 v[30:31], v23 offset:7680
	ds_read_b64 v[32:33], v24 offset:512
	;; [unrolled: 1-line block ×4, first 2 shown]
	v_and_b32_e32 v27, 0x1f8, v37
	v_add_nc_u32_e32 v24, s8, v28
	v_lshrrev_b32_e32 v37, 3, v46
	v_add_nc_u32_e32 v25, s8, v29
	v_lshrrev_b32_e32 v47, 9, v46
	v_lshl_add_u32 v28, v36, 3, 0
	v_and_b32_e32 v29, 0x1f8, v38
	v_add_nc_u32_e32 v27, s8, v27
	v_and_b32_e32 v36, 63, v46
	ds_read_b64 v[38:39], v24 offset:512
	ds_read_b64 v[24:25], v25 offset:1024
	;; [unrolled: 1-line block ×4, first 2 shown]
	v_and_b32_e32 v27, 0x1f8, v37
	v_and_b32_e32 v28, 0x1f8, v47
	v_add_nc_u32_e32 v29, s8, v29
	v_lshrrev_b32_e32 v52, 3, v26
	v_lshl_add_u32 v36, v36, 3, 0
	v_and_b32_e32 v51, 63, v26
	v_lshrrev_b32_e32 v53, 9, v26
	v_add_nc_u32_e32 v54, v46, v50
	v_add_nc_u32_e32 v37, s8, v27
	;; [unrolled: 1-line block ×3, first 2 shown]
	ds_read_b64 v[26:27], v29 offset:1024
	ds_read_b64 v[46:47], v36 offset:7680
	;; [unrolled: 1-line block ×4, first 2 shown]
	v_and_b32_e32 v36, 0x1f8, v52
	v_lshl_add_u32 v37, v51, 3, 0
	v_and_b32_e32 v51, 0x1f8, v53
	v_add_nc_u32_e32 v55, v54, v45
	v_and_b32_e32 v52, 63, v54
	v_lshrrev_b32_e32 v53, 3, v54
	v_lshrrev_b32_e32 v54, 9, v54
	v_add_nc_u32_e32 v36, s8, v36
	v_add_nc_u32_e32 v51, s8, v51
	v_lshrrev_b32_e32 v56, 3, v55
	v_lshl_add_u32 v52, v52, 3, 0
	ds_read_b64 v[58:59], v37 offset:7680
	ds_read_b64 v[60:61], v36 offset:512
	;; [unrolled: 1-line block ×4, first 2 shown]
	v_and_b32_e32 v51, 0x1f8, v54
	v_and_b32_e32 v52, 63, v55
	;; [unrolled: 1-line block ×3, first 2 shown]
	v_add_nc_u32_e32 v56, v55, v45
	v_and_b32_e32 v53, 0x1f8, v53
	v_add_nc_u32_e32 v45, s8, v51
	v_lshl_add_u32 v51, v52, 3, 0
	v_lshrrev_b32_e32 v52, 9, v55
	v_lshrrev_b32_e32 v55, 3, v56
	;; [unrolled: 1-line block ×3, first 2 shown]
	v_add_nc_u32_e32 v53, s8, v53
	v_and_b32_e32 v70, 63, v56
	v_and_b32_e32 v52, 0x1f8, v52
	;; [unrolled: 1-line block ×3, first 2 shown]
	v_add_nc_u32_e32 v54, s8, v54
	v_and_b32_e32 v57, 0x1f8, v57
	ds_read_b64 v[64:65], v53 offset:512
	ds_read_b64 v[44:45], v45 offset:1024
	;; [unrolled: 1-line block ×4, first 2 shown]
	v_add_nc_u32_e32 v51, s8, v52
	v_lshl_add_u32 v52, v70, 3, 0
	v_add_nc_u32_e32 v53, s8, v55
	v_add_nc_u32_e32 v54, s8, v57
	;; [unrolled: 1-line block ×3, first 2 shown]
	ds_read_b64 v[50:51], v51 offset:1024
	ds_read_b64 v[70:71], v52 offset:7680
	;; [unrolled: 1-line block ×4, first 2 shown]
	v_lshrrev_b32_e32 v54, 3, v74
	v_lshrrev_b32_e32 v57, 9, v74
	v_and_b32_e32 v55, 63, v74
	v_lshrrev_b32_e32 v74, 3, v56
	v_lshrrev_b32_e32 v75, 9, v56
	v_and_b32_e32 v54, 0x1f8, v54
	v_and_b32_e32 v57, 0x1f8, v57
	;; [unrolled: 1-line block ×4, first 2 shown]
	v_lshl_add_u32 v55, v55, 3, 0
	v_and_b32_e32 v75, 0x1f8, v75
	v_add_nc_u32_e32 v54, s8, v54
	v_add_nc_u32_e32 v57, s8, v57
	v_lshl_add_u32 v56, v56, 3, 0
	v_add_nc_u32_e32 v80, s8, v74
	v_add_nc_u32_e32 v94, s8, v75
	ds_read_b64 v[74:75], v55 offset:7680
	ds_read_b64 v[76:77], v54 offset:512
	;; [unrolled: 1-line block ×6, first 2 shown]
	s_waitcnt lgkmcnt(0)
	s_barrier
	buffer_gl0_inv
	s_and_saveexec_b32 s8, vcc_lo
	s_cbranch_execz .LBB0_20
; %bb.19:
	v_mul_f32_e32 v94, v79, v81
	v_mul_f32_e32 v81, v78, v81
	;; [unrolled: 1-line block ×4, first 2 shown]
	v_mul_i32_i24_e32 v77, 9, v93
	v_fma_f32 v94, v78, v80, -v94
	v_mov_b32_e32 v78, 0
	v_fmac_f32_e32 v81, v79, v80
	v_fma_f32 v79, v74, v76, -v95
	v_mul_f32_e32 v80, v71, v73
	v_mul_f32_e32 v93, v70, v73
	v_lshlrev_b64 v[73:74], 3, v[77:78]
	v_mul_f32_e32 v77, v67, v69
	v_fmac_f32_e32 v96, v75, v76
	v_fma_f32 v78, v70, v72, -v80
	v_mul_f32_e32 v80, v66, v69
	v_mul_f32_e32 v95, v62, v65
	v_add_co_u32 v75, vcc_lo, s24, v73
	v_add_co_ci_u32_e32 v76, vcc_lo, s25, v74, vcc_lo
	v_fma_f32 v77, v66, v68, -v77
	v_mul_f32_e32 v66, v63, v65
	v_mul_f32_e32 v65, v59, v61
	;; [unrolled: 1-line block ×3, first 2 shown]
	v_fmac_f32_e32 v93, v71, v72
	v_fmac_f32_e32 v80, v67, v68
	v_fma_f32 v98, v62, v64, -v66
	v_fmac_f32_e32 v95, v63, v64
	v_fma_f32 v99, v58, v60, -v65
	v_fmac_f32_e32 v97, v59, v60
	s_clause 0x4
	global_load_dwordx4 v[58:61], v[75:76], off
	global_load_dwordx4 v[62:65], v[75:76], off offset:16
	global_load_dwordx4 v[66:69], v[75:76], off offset:48
	;; [unrolled: 1-line block ×3, first 2 shown]
	global_load_dwordx2 v[74:75], v[75:76], off offset:64
	v_mul_f32_e32 v76, v47, v49
	v_mul_f32_e32 v49, v46, v49
	v_fma_f32 v46, v46, v48, -v76
	v_fmac_f32_e32 v49, v47, v48
	v_mul_f32_e32 v47, v41, v43
	v_mul_f32_e32 v43, v40, v43
	;; [unrolled: 1-line block ×4, first 2 shown]
	v_fma_f32 v40, v40, v42, -v47
	v_fmac_f32_e32 v43, v41, v42
	v_mul_f32_e32 v41, v31, v33
	v_mul_f32_e32 v33, v30, v33
	v_fma_f32 v34, v34, v38, -v48
	v_fmac_f32_e32 v39, v35, v38
	v_mul_f32_e32 v35, v96, v55
	v_fma_f32 v30, v30, v32, -v41
	v_fmac_f32_e32 v33, v31, v32
	v_mul_f32_e32 v31, v81, v57
	v_mul_f32_e32 v32, v94, v57
	v_mul_f32_e32 v38, v79, v55
	v_mul_f32_e32 v41, v93, v53
	v_mul_f32_e32 v42, v78, v53
	v_mul_f32_e32 v47, v80, v51
	v_mul_f32_e32 v48, v77, v51
	v_mul_f32_e32 v51, v95, v45
	v_mul_f32_e32 v45, v98, v45
	v_fma_f32 v31, v56, v94, -v31
	v_mul_f32_e32 v53, v97, v37
	v_fmac_f32_e32 v32, v56, v81
	v_mul_f32_e32 v37, v99, v37
	v_mul_f32_e32 v55, v49, v29
	;; [unrolled: 1-line block ×3, first 2 shown]
	v_fma_f32 v35, v54, v79, -v35
	v_mul_f32_e32 v56, v43, v27
	v_fmac_f32_e32 v38, v54, v96
	v_mul_f32_e32 v27, v40, v27
	v_mul_f32_e32 v54, v39, v25
	;; [unrolled: 1-line block ×5, first 2 shown]
	v_fma_f32 v41, v52, v78, -v41
	v_fmac_f32_e32 v42, v52, v93
	v_fma_f32 v47, v50, v77, -v47
	v_fmac_f32_e32 v48, v50, v80
	v_fma_f32 v50, v44, v98, -v51
	v_fmac_f32_e32 v45, v44, v95
	v_fma_f32 v44, v36, v99, -v53
	v_fmac_f32_e32 v37, v36, v97
	v_fma_f32 v36, v28, v46, -v55
	v_fmac_f32_e32 v29, v28, v49
	v_fma_f32 v28, v26, v40, -v56
	v_fmac_f32_e32 v27, v26, v43
	v_fma_f32 v26, v24, v34, -v54
	v_fmac_f32_e32 v25, v24, v39
	v_fma_f32 v24, v22, v30, -v57
	v_fmac_f32_e32 v23, v22, v33
	s_waitcnt vmcnt(4)
	v_mul_f32_e32 v22, v18, v61
	s_waitcnt vmcnt(3)
	v_mul_f32_e32 v30, v20, v65
	;; [unrolled: 2-line block ×4, first 2 shown]
	v_mul_f32_e32 v39, v21, v65
	v_mul_f32_e32 v40, v7, v73
	;; [unrolled: 1-line block ×5, first 2 shown]
	s_waitcnt vmcnt(0)
	v_mul_f32_e32 v52, v13, v75
	v_mul_f32_e32 v53, v1, v67
	;; [unrolled: 1-line block ×9, first 2 shown]
	v_fmac_f32_e32 v22, v19, v60
	v_fmac_f32_e32 v30, v21, v64
	;; [unrolled: 1-line block ×4, first 2 shown]
	v_fma_f32 v3, v20, v64, -v39
	v_fma_f32 v6, v6, v72, -v40
	;; [unrolled: 1-line block ×6, first 2 shown]
	v_fmac_f32_e32 v55, v5, v62
	v_fmac_f32_e32 v56, v13, v74
	;; [unrolled: 1-line block ×4, first 2 shown]
	v_fma_f32 v7, v18, v60, -v43
	v_fma_f32 v2, v2, v68, -v46
	;; [unrolled: 1-line block ×3, first 2 shown]
	v_fmac_f32_e32 v59, v17, v58
	v_sub_f32_e32 v1, v22, v30
	v_sub_f32_e32 v5, v33, v34
	v_add_f32_e32 v17, v30, v34
	v_sub_f32_e32 v18, v4, v14
	v_sub_f32_e32 v19, v12, v0
	v_add_f32_e32 v20, v14, v0
	;; [unrolled: 3-line block ×3, first 2 shown]
	v_add_f32_e32 v54, v3, v6
	v_add_f32_e32 v67, v4, v12
	;; [unrolled: 1-line block ×3, first 2 shown]
	v_sub_f32_e32 v15, v7, v2
	v_sub_f32_e32 v21, v55, v56
	;; [unrolled: 1-line block ×9, first 2 shown]
	v_add_f32_e32 v64, v22, v33
	v_sub_f32_e32 v65, v14, v4
	v_sub_f32_e32 v68, v57, v55
	;; [unrolled: 1-line block ×3, first 2 shown]
	v_add_f32_e32 v73, v7, v2
	v_add_f32_e32 v22, v11, v22
	;; [unrolled: 1-line block ×6, first 2 shown]
	v_fma_f32 v5, -0.5, v17, v11
	v_add_f32_e32 v17, v18, v19
	v_fma_f32 v18, -0.5, v20, v16
	v_add_f32_e32 v19, v40, v43
	v_fma_f32 v20, -0.5, v51, v59
	v_fma_f32 v43, -0.5, v54, v10
	v_fma_f32 v16, -0.5, v67, v16
	v_fma_f32 v54, -0.5, v70, v59
	v_sub_f32_e32 v13, v3, v6
	v_sub_f32_e32 v53, v2, v6
	;; [unrolled: 1-line block ×5, first 2 shown]
	v_add_f32_e32 v51, v62, v63
	v_fma_f32 v11, -0.5, v64, v11
	v_add_f32_e32 v22, v22, v30
	v_add_f32_e32 v30, v55, v57
	;; [unrolled: 1-line block ×4, first 2 shown]
	v_fmamk_f32 v14, v21, 0xbf737871, v18
	v_fmamk_f32 v55, v49, 0x3f737871, v20
	;; [unrolled: 1-line block ×4, first 2 shown]
	v_fmac_f32_e32 v54, 0x3f737871, v46
	v_fmac_f32_e32 v16, 0xbf737871, v39
	;; [unrolled: 1-line block ×4, first 2 shown]
	v_add_f32_e32 v40, v52, v53
	v_add_f32_e32 v52, v65, v66
	;; [unrolled: 1-line block ×3, first 2 shown]
	v_fma_f32 v10, -0.5, v73, v10
	v_add_f32_e32 v22, v22, v34
	v_add_f32_e32 v30, v30, v61
	;; [unrolled: 1-line block ×4, first 2 shown]
	v_fmac_f32_e32 v14, 0xbf167918, v39
	v_fmac_f32_e32 v64, 0x3f167918, v49
	v_fmac_f32_e32 v54, 0xbf167918, v49
	v_fmac_f32_e32 v16, 0x3f167918, v21
	v_fmac_f32_e32 v20, 0xbf167918, v46
	v_fmac_f32_e32 v18, 0x3f167918, v39
	v_fmac_f32_e32 v55, 0x3f167918, v46
	v_fmac_f32_e32 v63, 0xbf167918, v21
	v_sub_f32_e32 v72, v6, v2
	v_fmamk_f32 v7, v15, 0x3f737871, v5
	v_fmamk_f32 v57, v58, 0xbf737871, v43
	;; [unrolled: 1-line block ×4, first 2 shown]
	v_fmac_f32_e32 v11, 0x3f737871, v13
	v_fmac_f32_e32 v10, 0xbf737871, v60
	;; [unrolled: 1-line block ×4, first 2 shown]
	v_add_f32_e32 v4, v22, v33
	v_add_f32_e32 v6, v30, v56
	;; [unrolled: 1-line block ×4, first 2 shown]
	v_fmac_f32_e32 v14, 0x3e9e377a, v17
	v_fmac_f32_e32 v64, 0x3e9e377a, v53
	v_fmac_f32_e32 v54, 0x3e9e377a, v53
	v_fmac_f32_e32 v16, 0x3e9e377a, v52
	v_fmac_f32_e32 v20, 0x3e9e377a, v19
	v_fmac_f32_e32 v18, 0x3e9e377a, v17
	v_fmac_f32_e32 v55, 0x3e9e377a, v19
	v_fmac_f32_e32 v63, 0x3e9e377a, v52
	v_add_f32_e32 v59, v71, v72
	v_fmac_f32_e32 v7, 0x3f167918, v13
	v_fmac_f32_e32 v57, 0xbf167918, v60
	;; [unrolled: 1-line block ×7, first 2 shown]
	v_sub_f32_e32 v12, v4, v6
	v_sub_f32_e32 v13, v2, v0
	v_add_f32_e32 v4, v4, v6
	v_add_f32_e32 v2, v2, v0
	v_mul_f32_e32 v6, 0x3f4f1bbd, v14
	v_mul_f32_e32 v15, 0x3e9e377a, v64
	;; [unrolled: 1-line block ×6, first 2 shown]
	v_fmac_f32_e32 v65, 0xbf167918, v58
	v_mul_f32_e32 v0, 0x3f4f1bbd, v55
	v_mul_f32_e32 v17, 0x3e9e377a, v63
	v_fmac_f32_e32 v7, 0x3e9e377a, v1
	v_fmac_f32_e32 v57, 0x3e9e377a, v40
	;; [unrolled: 1-line block ×7, first 2 shown]
	v_mul_f32_e32 v1, v13, v45
	v_mul_f32_e32 v3, v2, v23
	;; [unrolled: 1-line block ×3, first 2 shown]
	v_fma_f32 v6, 0x3f167918, v55, -v6
	v_fma_f32 v15, 0xbf737871, v63, -v15
	v_fmac_f32_e32 v19, 0x3e9e377a, v54
	v_fmac_f32_e32 v21, 0x3e9e377a, v16
	;; [unrolled: 1-line block ×5, first 2 shown]
	v_fma_f32 v14, 0xbf167918, v14, -v0
	v_fma_f32 v17, 0x3f737871, v64, -v17
	v_mul_f32_e32 v33, v12, v45
	v_fmac_f32_e32 v1, v12, v50
	v_fmac_f32_e32 v3, v4, v24
	v_fma_f32 v2, v2, v24, -v23
	v_sub_f32_e32 v20, v57, v6
	v_sub_f32_e32 v12, v62, v15
	;; [unrolled: 1-line block ×4, first 2 shown]
	v_add_f32_e32 v40, v11, v19
	v_add_f32_e32 v10, v10, v21
	;; [unrolled: 1-line block ×4, first 2 shown]
	v_sub_f32_e32 v4, v7, v14
	v_sub_f32_e32 v16, v65, v17
	v_add_f32_e32 v14, v7, v14
	v_add_f32_e32 v6, v57, v6
	;; [unrolled: 1-line block ×4, first 2 shown]
	v_fma_f32 v0, v13, v50, -v33
	v_sub_f32_e32 v33, v43, v30
	v_sub_f32_e32 v18, v11, v19
	ds_write_b64 v92, v[2:3]
	v_mul_f32_e32 v3, v20, v32
	v_mul_f32_e32 v30, v12, v38
	;; [unrolled: 1-line block ×16, first 2 shown]
	v_fmac_f32_e32 v3, v4, v31
	v_fma_f32 v4, v16, v35, -v30
	v_fmac_f32_e32 v7, v18, v41
	v_fmac_f32_e32 v17, v40, v28
	v_fma_f32 v16, v10, v28, -v27
	v_fmac_f32_e32 v19, v21, v26
	v_fma_f32 v18, v22, v26, -v25
	v_fmac_f32_e32 v5, v12, v35
	v_fmac_f32_e32 v13, v14, v44
	v_fma_f32 v12, v6, v44, -v37
	v_fmac_f32_e32 v15, v34, v36
	v_fma_f32 v14, v39, v36, -v29
	;; [unrolled: 2-line block ×3, first 2 shown]
	v_fma_f32 v6, v23, v41, -v32
	v_fma_f32 v2, v20, v31, -v2
	ds_write2_b64 v91, v[18:19], v[16:17] offset0:6 offset1:12
	ds_write2_b64 v91, v[14:15], v[12:13] offset0:18 offset1:24
	;; [unrolled: 1-line block ×4, first 2 shown]
	ds_write_b64 v91, v[2:3] offset:432
.LBB0_20:
	s_or_b32 exec_lo, exec_lo, s8
	s_waitcnt lgkmcnt(0)
	s_barrier
	buffer_gl0_inv
	s_and_saveexec_b32 s8, s5
	s_cbranch_execz .LBB0_22
; %bb.21:
	v_mad_u64_u32 v[4:5], null, s2, v88, 0
	v_mad_u64_u32 v[6:7], null, s0, v87, 0
	s_mul_i32 s5, s7, s4
	s_mul_hi_u32 s7, s6, s4
	s_mul_i32 s2, s6, s4
	v_lshlrev_b64 v[8:9], 3, v[8:9]
	v_mov_b32_e32 v0, v5
	v_add3_u32 v23, 0, v89, v90
	v_mov_b32_e32 v1, v7
	v_mad_u64_u32 v[15:16], null, s0, v83, 0
	v_mad_u64_u32 v[2:3], null, s3, v88, v[0:1]
	s_add_i32 s3, s7, s5
	s_lshl_b64 s[2:3], s[2:3], 3
	s_add_u32 s2, s18, s2
	s_addc_u32 s3, s19, s3
	v_mad_u64_u32 v[10:11], null, s1, v87, v[1:2]
	v_mov_b32_e32 v5, v2
	v_mad_u64_u32 v[11:12], null, s0, v86, 0
	v_add_co_u32 v13, vcc_lo, s2, v8
	v_lshlrev_b64 v[4:5], 3, v[4:5]
	v_mov_b32_e32 v7, v10
	v_add_co_ci_u32_e32 v14, vcc_lo, s3, v9, vcc_lo
	v_mad_u64_u32 v[9:10], null, s0, v85, 0
	v_mov_b32_e32 v8, v12
	v_add_co_u32 v24, vcc_lo, v13, v4
	ds_read2_b64 v[0:3], v23 offset1:10
	v_add_co_ci_u32_e32 v25, vcc_lo, v14, v5, vcc_lo
	v_mad_u64_u32 v[13:14], null, s0, v84, 0
	v_lshlrev_b64 v[4:5], 3, v[6:7]
	v_mad_u64_u32 v[6:7], null, s1, v86, v[8:9]
	v_mov_b32_e32 v7, v10
	v_add_co_u32 v4, vcc_lo, v24, v4
	v_mad_u64_u32 v[7:8], null, s1, v85, v[7:8]
	v_mov_b32_e32 v8, v14
	v_add_co_ci_u32_e32 v5, vcc_lo, v25, v5, vcc_lo
	v_mov_b32_e32 v12, v6
	v_mad_u64_u32 v[17:18], null, s1, v84, v[8:9]
	v_mad_u64_u32 v[18:19], null, s0, v82, 0
	s_waitcnt lgkmcnt(0)
	global_store_dwordx2 v[4:5], v[0:1], off
	v_mov_b32_e32 v4, v16
	v_lshlrev_b64 v[0:1], 3, v[11:12]
	v_mov_b32_e32 v10, v7
	v_mov_b32_e32 v14, v17
	;; [unrolled: 1-line block ×3, first 2 shown]
	v_mad_u64_u32 v[11:12], null, s1, v83, v[4:5]
	v_lshlrev_b64 v[19:20], 3, v[9:10]
	ds_read2_b64 v[4:7], v23 offset0:20 offset1:30
	v_mad_u64_u32 v[21:22], null, s1, v82, v[8:9]
	v_add_co_u32 v0, vcc_lo, v24, v0
	v_mov_b32_e32 v16, v11
	ds_read2_b64 v[8:11], v23 offset0:40 offset1:50
	v_add_co_ci_u32_e32 v1, vcc_lo, v25, v1, vcc_lo
	v_lshlrev_b64 v[12:13], 3, v[13:14]
	v_add_co_u32 v22, vcc_lo, v24, v19
	v_mov_b32_e32 v19, v21
	v_lshlrev_b64 v[14:15], 3, v[15:16]
	v_add_co_ci_u32_e32 v23, vcc_lo, v25, v20, vcc_lo
	v_add_co_u32 v12, vcc_lo, v24, v12
	v_lshlrev_b64 v[16:17], 3, v[18:19]
	v_add_co_ci_u32_e32 v13, vcc_lo, v25, v13, vcc_lo
	v_add_co_u32 v14, vcc_lo, v24, v14
	v_add_co_ci_u32_e32 v15, vcc_lo, v25, v15, vcc_lo
	v_add_co_u32 v16, vcc_lo, v24, v16
	v_add_co_ci_u32_e32 v17, vcc_lo, v25, v17, vcc_lo
	global_store_dwordx2 v[0:1], v[2:3], off
	s_waitcnt lgkmcnt(1)
	global_store_dwordx2 v[22:23], v[4:5], off
	global_store_dwordx2 v[12:13], v[6:7], off
	s_waitcnt lgkmcnt(0)
	global_store_dwordx2 v[14:15], v[8:9], off
	global_store_dwordx2 v[16:17], v[10:11], off
.LBB0_22:
	s_endpgm
	.section	.rodata,"a",@progbits
	.p2align	6, 0x0
	.amdhsa_kernel fft_rtc_fwd_len60_factors_6_10_wgs_160_tpt_10_sp_op_CI_CI_sbcc_twdbase6_3step
		.amdhsa_group_segment_fixed_size 0
		.amdhsa_private_segment_fixed_size 0
		.amdhsa_kernarg_size 112
		.amdhsa_user_sgpr_count 6
		.amdhsa_user_sgpr_private_segment_buffer 1
		.amdhsa_user_sgpr_dispatch_ptr 0
		.amdhsa_user_sgpr_queue_ptr 0
		.amdhsa_user_sgpr_kernarg_segment_ptr 1
		.amdhsa_user_sgpr_dispatch_id 0
		.amdhsa_user_sgpr_flat_scratch_init 0
		.amdhsa_user_sgpr_private_segment_size 0
		.amdhsa_wavefront_size32 1
		.amdhsa_uses_dynamic_stack 0
		.amdhsa_system_sgpr_private_segment_wavefront_offset 0
		.amdhsa_system_sgpr_workgroup_id_x 1
		.amdhsa_system_sgpr_workgroup_id_y 0
		.amdhsa_system_sgpr_workgroup_id_z 0
		.amdhsa_system_sgpr_workgroup_info 0
		.amdhsa_system_vgpr_workitem_id 0
		.amdhsa_next_free_vgpr 100
		.amdhsa_next_free_sgpr 53
		.amdhsa_reserve_vcc 1
		.amdhsa_reserve_flat_scratch 0
		.amdhsa_float_round_mode_32 0
		.amdhsa_float_round_mode_16_64 0
		.amdhsa_float_denorm_mode_32 3
		.amdhsa_float_denorm_mode_16_64 3
		.amdhsa_dx10_clamp 1
		.amdhsa_ieee_mode 1
		.amdhsa_fp16_overflow 0
		.amdhsa_workgroup_processor_mode 1
		.amdhsa_memory_ordered 1
		.amdhsa_forward_progress 0
		.amdhsa_shared_vgpr_count 0
		.amdhsa_exception_fp_ieee_invalid_op 0
		.amdhsa_exception_fp_denorm_src 0
		.amdhsa_exception_fp_ieee_div_zero 0
		.amdhsa_exception_fp_ieee_overflow 0
		.amdhsa_exception_fp_ieee_underflow 0
		.amdhsa_exception_fp_ieee_inexact 0
		.amdhsa_exception_int_div_zero 0
	.end_amdhsa_kernel
	.text
.Lfunc_end0:
	.size	fft_rtc_fwd_len60_factors_6_10_wgs_160_tpt_10_sp_op_CI_CI_sbcc_twdbase6_3step, .Lfunc_end0-fft_rtc_fwd_len60_factors_6_10_wgs_160_tpt_10_sp_op_CI_CI_sbcc_twdbase6_3step
                                        ; -- End function
	.section	.AMDGPU.csdata,"",@progbits
; Kernel info:
; codeLenInByte = 5636
; NumSgprs: 55
; NumVgprs: 100
; ScratchSize: 0
; MemoryBound: 0
; FloatMode: 240
; IeeeMode: 1
; LDSByteSize: 0 bytes/workgroup (compile time only)
; SGPRBlocks: 6
; VGPRBlocks: 12
; NumSGPRsForWavesPerEU: 55
; NumVGPRsForWavesPerEU: 100
; Occupancy: 9
; WaveLimiterHint : 1
; COMPUTE_PGM_RSRC2:SCRATCH_EN: 0
; COMPUTE_PGM_RSRC2:USER_SGPR: 6
; COMPUTE_PGM_RSRC2:TRAP_HANDLER: 0
; COMPUTE_PGM_RSRC2:TGID_X_EN: 1
; COMPUTE_PGM_RSRC2:TGID_Y_EN: 0
; COMPUTE_PGM_RSRC2:TGID_Z_EN: 0
; COMPUTE_PGM_RSRC2:TIDIG_COMP_CNT: 0
	.text
	.p2alignl 6, 3214868480
	.fill 48, 4, 3214868480
	.type	__hip_cuid_67efc1f2762f1069,@object ; @__hip_cuid_67efc1f2762f1069
	.section	.bss,"aw",@nobits
	.globl	__hip_cuid_67efc1f2762f1069
__hip_cuid_67efc1f2762f1069:
	.byte	0                               ; 0x0
	.size	__hip_cuid_67efc1f2762f1069, 1

	.ident	"AMD clang version 19.0.0git (https://github.com/RadeonOpenCompute/llvm-project roc-6.4.0 25133 c7fe45cf4b819c5991fe208aaa96edf142730f1d)"
	.section	".note.GNU-stack","",@progbits
	.addrsig
	.addrsig_sym __hip_cuid_67efc1f2762f1069
	.amdgpu_metadata
---
amdhsa.kernels:
  - .args:
      - .actual_access:  read_only
        .address_space:  global
        .offset:         0
        .size:           8
        .value_kind:     global_buffer
      - .address_space:  global
        .offset:         8
        .size:           8
        .value_kind:     global_buffer
      - .offset:         16
        .size:           8
        .value_kind:     by_value
      - .actual_access:  read_only
        .address_space:  global
        .offset:         24
        .size:           8
        .value_kind:     global_buffer
      - .actual_access:  read_only
        .address_space:  global
        .offset:         32
        .size:           8
        .value_kind:     global_buffer
      - .actual_access:  read_only
        .address_space:  global
        .offset:         40
        .size:           8
        .value_kind:     global_buffer
      - .offset:         48
        .size:           8
        .value_kind:     by_value
      - .actual_access:  read_only
        .address_space:  global
        .offset:         56
        .size:           8
        .value_kind:     global_buffer
      - .actual_access:  read_only
        .address_space:  global
        .offset:         64
        .size:           8
        .value_kind:     global_buffer
      - .offset:         72
        .size:           4
        .value_kind:     by_value
      - .actual_access:  read_only
        .address_space:  global
        .offset:         80
        .size:           8
        .value_kind:     global_buffer
      - .actual_access:  read_only
        .address_space:  global
        .offset:         88
        .size:           8
        .value_kind:     global_buffer
      - .actual_access:  read_only
        .address_space:  global
        .offset:         96
        .size:           8
        .value_kind:     global_buffer
      - .actual_access:  write_only
        .address_space:  global
        .offset:         104
        .size:           8
        .value_kind:     global_buffer
    .group_segment_fixed_size: 0
    .kernarg_segment_align: 8
    .kernarg_segment_size: 112
    .language:       OpenCL C
    .language_version:
      - 2
      - 0
    .max_flat_workgroup_size: 160
    .name:           fft_rtc_fwd_len60_factors_6_10_wgs_160_tpt_10_sp_op_CI_CI_sbcc_twdbase6_3step
    .private_segment_fixed_size: 0
    .sgpr_count:     55
    .sgpr_spill_count: 0
    .symbol:         fft_rtc_fwd_len60_factors_6_10_wgs_160_tpt_10_sp_op_CI_CI_sbcc_twdbase6_3step.kd
    .uniform_work_group_size: 1
    .uses_dynamic_stack: false
    .vgpr_count:     100
    .vgpr_spill_count: 0
    .wavefront_size: 32
    .workgroup_processor_mode: 1
amdhsa.target:   amdgcn-amd-amdhsa--gfx1030
amdhsa.version:
  - 1
  - 2
...

	.end_amdgpu_metadata
